;; amdgpu-corpus repo=ROCm/rocFFT kind=compiled arch=gfx1030 opt=O3
	.text
	.amdgcn_target "amdgcn-amd-amdhsa--gfx1030"
	.amdhsa_code_object_version 6
	.protected	fft_rtc_fwd_len192_factors_6_4_4_2_wgs_128_tpt_16_halfLds_half_ip_CI_sbrr_dirReg ; -- Begin function fft_rtc_fwd_len192_factors_6_4_4_2_wgs_128_tpt_16_halfLds_half_ip_CI_sbrr_dirReg
	.globl	fft_rtc_fwd_len192_factors_6_4_4_2_wgs_128_tpt_16_halfLds_half_ip_CI_sbrr_dirReg
	.p2align	8
	.type	fft_rtc_fwd_len192_factors_6_4_4_2_wgs_128_tpt_16_halfLds_half_ip_CI_sbrr_dirReg,@function
fft_rtc_fwd_len192_factors_6_4_4_2_wgs_128_tpt_16_halfLds_half_ip_CI_sbrr_dirReg: ; @fft_rtc_fwd_len192_factors_6_4_4_2_wgs_128_tpt_16_halfLds_half_ip_CI_sbrr_dirReg
; %bb.0:
	s_clause 0x2
	s_load_dwordx2 s[14:15], s[4:5], 0x18
	s_load_dwordx4 s[8:11], s[4:5], 0x0
	s_load_dwordx2 s[12:13], s[4:5], 0x50
	v_lshrrev_b32_e32 v10, 4, v0
	v_mov_b32_e32 v3, 0
	v_mov_b32_e32 v1, 0
	;; [unrolled: 1-line block ×3, first 2 shown]
	v_lshl_or_b32 v5, s6, 3, v10
	v_mov_b32_e32 v6, v3
	s_waitcnt lgkmcnt(0)
	s_load_dwordx2 s[2:3], s[14:15], 0x0
	v_cmp_lt_u64_e64 s0, s[10:11], 2
	s_and_b32 vcc_lo, exec_lo, s0
	s_cbranch_vccnz .LBB0_8
; %bb.1:
	s_load_dwordx2 s[0:1], s[4:5], 0x10
	v_mov_b32_e32 v1, 0
	s_add_u32 s6, s14, 8
	v_mov_b32_e32 v2, 0
	s_addc_u32 s7, s15, 0
	s_mov_b64 s[18:19], 1
	s_waitcnt lgkmcnt(0)
	s_add_u32 s16, s0, 8
	s_addc_u32 s17, s1, 0
.LBB0_2:                                ; =>This Inner Loop Header: Depth=1
	s_load_dwordx2 s[20:21], s[16:17], 0x0
                                        ; implicit-def: $vgpr7_vgpr8
	s_mov_b32 s0, exec_lo
	s_waitcnt lgkmcnt(0)
	v_or_b32_e32 v4, s21, v6
	v_cmpx_ne_u64_e32 0, v[3:4]
	s_xor_b32 s1, exec_lo, s0
	s_cbranch_execz .LBB0_4
; %bb.3:                                ;   in Loop: Header=BB0_2 Depth=1
	v_cvt_f32_u32_e32 v4, s20
	v_cvt_f32_u32_e32 v7, s21
	s_sub_u32 s0, 0, s20
	s_subb_u32 s22, 0, s21
	v_fmac_f32_e32 v4, 0x4f800000, v7
	v_rcp_f32_e32 v4, v4
	v_mul_f32_e32 v4, 0x5f7ffffc, v4
	v_mul_f32_e32 v7, 0x2f800000, v4
	v_trunc_f32_e32 v7, v7
	v_fmac_f32_e32 v4, 0xcf800000, v7
	v_cvt_u32_f32_e32 v7, v7
	v_cvt_u32_f32_e32 v4, v4
	v_mul_lo_u32 v8, s0, v7
	v_mul_hi_u32 v9, s0, v4
	v_mul_lo_u32 v11, s22, v4
	v_add_nc_u32_e32 v8, v9, v8
	v_mul_lo_u32 v9, s0, v4
	v_add_nc_u32_e32 v8, v8, v11
	v_mul_hi_u32 v11, v4, v9
	v_mul_lo_u32 v12, v4, v8
	v_mul_hi_u32 v13, v4, v8
	v_mul_hi_u32 v14, v7, v9
	v_mul_lo_u32 v9, v7, v9
	v_mul_hi_u32 v15, v7, v8
	v_mul_lo_u32 v8, v7, v8
	v_add_co_u32 v11, vcc_lo, v11, v12
	v_add_co_ci_u32_e32 v12, vcc_lo, 0, v13, vcc_lo
	v_add_co_u32 v9, vcc_lo, v11, v9
	v_add_co_ci_u32_e32 v9, vcc_lo, v12, v14, vcc_lo
	v_add_co_ci_u32_e32 v11, vcc_lo, 0, v15, vcc_lo
	v_add_co_u32 v8, vcc_lo, v9, v8
	v_add_co_ci_u32_e32 v9, vcc_lo, 0, v11, vcc_lo
	v_add_co_u32 v4, vcc_lo, v4, v8
	v_add_co_ci_u32_e32 v7, vcc_lo, v7, v9, vcc_lo
	v_mul_hi_u32 v8, s0, v4
	v_mul_lo_u32 v11, s22, v4
	v_mul_lo_u32 v9, s0, v7
	v_add_nc_u32_e32 v8, v8, v9
	v_mul_lo_u32 v9, s0, v4
	v_add_nc_u32_e32 v8, v8, v11
	v_mul_hi_u32 v11, v4, v9
	v_mul_lo_u32 v12, v4, v8
	v_mul_hi_u32 v13, v4, v8
	v_mul_hi_u32 v14, v7, v9
	v_mul_lo_u32 v9, v7, v9
	v_mul_hi_u32 v15, v7, v8
	v_mul_lo_u32 v8, v7, v8
	v_add_co_u32 v11, vcc_lo, v11, v12
	v_add_co_ci_u32_e32 v12, vcc_lo, 0, v13, vcc_lo
	v_add_co_u32 v9, vcc_lo, v11, v9
	v_add_co_ci_u32_e32 v9, vcc_lo, v12, v14, vcc_lo
	v_add_co_ci_u32_e32 v11, vcc_lo, 0, v15, vcc_lo
	v_add_co_u32 v8, vcc_lo, v9, v8
	v_add_co_ci_u32_e32 v9, vcc_lo, 0, v11, vcc_lo
	v_add_co_u32 v4, vcc_lo, v4, v8
	v_add_co_ci_u32_e32 v9, vcc_lo, v7, v9, vcc_lo
	v_mul_hi_u32 v15, v5, v4
	v_mad_u64_u32 v[11:12], null, v6, v4, 0
	v_mad_u64_u32 v[7:8], null, v5, v9, 0
	;; [unrolled: 1-line block ×3, first 2 shown]
	v_add_co_u32 v4, vcc_lo, v15, v7
	v_add_co_ci_u32_e32 v7, vcc_lo, 0, v8, vcc_lo
	v_add_co_u32 v4, vcc_lo, v4, v11
	v_add_co_ci_u32_e32 v4, vcc_lo, v7, v12, vcc_lo
	v_add_co_ci_u32_e32 v7, vcc_lo, 0, v14, vcc_lo
	v_add_co_u32 v4, vcc_lo, v4, v13
	v_add_co_ci_u32_e32 v9, vcc_lo, 0, v7, vcc_lo
	v_mul_lo_u32 v11, s21, v4
	v_mad_u64_u32 v[7:8], null, s20, v4, 0
	v_mul_lo_u32 v12, s20, v9
	v_sub_co_u32 v7, vcc_lo, v5, v7
	v_add3_u32 v8, v8, v12, v11
	v_sub_nc_u32_e32 v11, v6, v8
	v_subrev_co_ci_u32_e64 v11, s0, s21, v11, vcc_lo
	v_add_co_u32 v12, s0, v4, 2
	v_add_co_ci_u32_e64 v13, s0, 0, v9, s0
	v_sub_co_u32 v14, s0, v7, s20
	v_sub_co_ci_u32_e32 v8, vcc_lo, v6, v8, vcc_lo
	v_subrev_co_ci_u32_e64 v11, s0, 0, v11, s0
	v_cmp_le_u32_e32 vcc_lo, s20, v14
	v_cmp_eq_u32_e64 s0, s21, v8
	v_cndmask_b32_e64 v14, 0, -1, vcc_lo
	v_cmp_le_u32_e32 vcc_lo, s21, v11
	v_cndmask_b32_e64 v15, 0, -1, vcc_lo
	v_cmp_le_u32_e32 vcc_lo, s20, v7
	;; [unrolled: 2-line block ×3, first 2 shown]
	v_cndmask_b32_e64 v16, 0, -1, vcc_lo
	v_cmp_eq_u32_e32 vcc_lo, s21, v11
	v_cndmask_b32_e64 v7, v16, v7, s0
	v_cndmask_b32_e32 v11, v15, v14, vcc_lo
	v_add_co_u32 v14, vcc_lo, v4, 1
	v_add_co_ci_u32_e32 v15, vcc_lo, 0, v9, vcc_lo
	v_cmp_ne_u32_e32 vcc_lo, 0, v11
	v_cndmask_b32_e32 v8, v15, v13, vcc_lo
	v_cndmask_b32_e32 v11, v14, v12, vcc_lo
	v_cmp_ne_u32_e32 vcc_lo, 0, v7
	v_cndmask_b32_e32 v8, v9, v8, vcc_lo
	v_cndmask_b32_e32 v7, v4, v11, vcc_lo
.LBB0_4:                                ;   in Loop: Header=BB0_2 Depth=1
	s_andn2_saveexec_b32 s0, s1
	s_cbranch_execz .LBB0_6
; %bb.5:                                ;   in Loop: Header=BB0_2 Depth=1
	v_cvt_f32_u32_e32 v4, s20
	s_sub_i32 s1, 0, s20
	v_rcp_iflag_f32_e32 v4, v4
	v_mul_f32_e32 v4, 0x4f7ffffe, v4
	v_cvt_u32_f32_e32 v4, v4
	v_mul_lo_u32 v7, s1, v4
	v_mul_hi_u32 v7, v4, v7
	v_add_nc_u32_e32 v4, v4, v7
	v_mul_hi_u32 v4, v5, v4
	v_mul_lo_u32 v7, v4, s20
	v_add_nc_u32_e32 v8, 1, v4
	v_sub_nc_u32_e32 v7, v5, v7
	v_subrev_nc_u32_e32 v9, s20, v7
	v_cmp_le_u32_e32 vcc_lo, s20, v7
	v_cndmask_b32_e32 v7, v7, v9, vcc_lo
	v_cndmask_b32_e32 v4, v4, v8, vcc_lo
	v_cmp_le_u32_e32 vcc_lo, s20, v7
	v_add_nc_u32_e32 v8, 1, v4
	v_cndmask_b32_e32 v7, v4, v8, vcc_lo
	v_mov_b32_e32 v8, v3
.LBB0_6:                                ;   in Loop: Header=BB0_2 Depth=1
	s_or_b32 exec_lo, exec_lo, s0
	s_load_dwordx2 s[0:1], s[6:7], 0x0
	v_mul_lo_u32 v4, v8, s20
	v_mul_lo_u32 v9, v7, s21
	v_mad_u64_u32 v[11:12], null, v7, s20, 0
	s_add_u32 s18, s18, 1
	s_addc_u32 s19, s19, 0
	s_add_u32 s6, s6, 8
	s_addc_u32 s7, s7, 0
	;; [unrolled: 2-line block ×3, first 2 shown]
	v_add3_u32 v4, v12, v9, v4
	v_sub_co_u32 v5, vcc_lo, v5, v11
	v_sub_co_ci_u32_e32 v4, vcc_lo, v6, v4, vcc_lo
	s_waitcnt lgkmcnt(0)
	v_mul_lo_u32 v6, s1, v5
	v_mul_lo_u32 v4, s0, v4
	v_mad_u64_u32 v[1:2], null, s0, v5, v[1:2]
	v_cmp_ge_u64_e64 s0, s[18:19], s[10:11]
	s_and_b32 vcc_lo, exec_lo, s0
	v_add3_u32 v2, v6, v2, v4
	s_cbranch_vccnz .LBB0_9
; %bb.7:                                ;   in Loop: Header=BB0_2 Depth=1
	v_mov_b32_e32 v5, v7
	v_mov_b32_e32 v6, v8
	s_branch .LBB0_2
.LBB0_8:
	v_mov_b32_e32 v8, v6
	v_mov_b32_e32 v7, v5
.LBB0_9:
	s_lshl_b64 s[0:1], s[10:11], 3
	v_and_b32_e32 v16, 15, v0
	s_add_u32 s0, s14, s0
	s_addc_u32 s1, s15, s1
                                        ; implicit-def: $vgpr5
                                        ; implicit-def: $vgpr9
	s_load_dwordx2 s[0:1], s[0:1], 0x0
	s_load_dwordx2 s[4:5], s[4:5], 0x20
	v_or_b32_e32 v18, 16, v16
	v_or_b32_e32 v14, 48, v16
	;; [unrolled: 1-line block ×5, first 2 shown]
	s_waitcnt lgkmcnt(0)
	v_mul_lo_u32 v3, s0, v8
	v_mul_lo_u32 v4, s1, v7
	v_mad_u64_u32 v[0:1], null, s0, v7, v[1:2]
	v_cmp_gt_u64_e32 vcc_lo, s[4:5], v[7:8]
	v_cmp_le_u64_e64 s0, s[4:5], v[7:8]
                                        ; implicit-def: $vgpr2
                                        ; implicit-def: $vgpr7
	v_add3_u32 v1, v4, v1, v3
                                        ; implicit-def: $vgpr3
	s_and_saveexec_b32 s1, s0
	s_xor_b32 s0, exec_lo, s1
; %bb.10:
	v_or_b32_e32 v2, 16, v16
	v_or_b32_e32 v5, 48, v16
	;; [unrolled: 1-line block ×5, first 2 shown]
; %bb.11:
	s_or_saveexec_b32 s1, s0
	v_lshlrev_b64 v[0:1], 2, v[0:1]
	v_or_b32_e32 v23, 0x60, v16
	v_or_b32_e32 v20, 0x80, v16
	;; [unrolled: 1-line block ×6, first 2 shown]
                                        ; implicit-def: $vgpr31
                                        ; implicit-def: $vgpr28
                                        ; implicit-def: $vgpr35
                                        ; implicit-def: $vgpr32
                                        ; implicit-def: $vgpr43
                                        ; implicit-def: $vgpr40
                                        ; implicit-def: $vgpr39
                                        ; implicit-def: $vgpr36
                                        ; implicit-def: $vgpr42
                                        ; implicit-def: $vgpr41
                                        ; implicit-def: $vgpr38
                                        ; implicit-def: $vgpr37
                                        ; implicit-def: $vgpr11
                                        ; implicit-def: $vgpr8
                                        ; implicit-def: $vgpr6
                                        ; implicit-def: $vgpr4
                                        ; implicit-def: $vgpr33
                                        ; implicit-def: $vgpr27
                                        ; implicit-def: $vgpr30
                                        ; implicit-def: $vgpr24
                                        ; implicit-def: $vgpr34
                                        ; implicit-def: $vgpr29
                                        ; implicit-def: $vgpr26
                                        ; implicit-def: $vgpr25
	s_xor_b32 exec_lo, exec_lo, s1
	s_cbranch_execz .LBB0_13
; %bb.12:
	v_mad_u64_u32 v[2:3], null, s2, v16, 0
	v_mad_u64_u32 v[4:5], null, s2, v17, 0
	;; [unrolled: 1-line block ×7, first 2 shown]
	v_mov_b32_e32 v11, v25
	v_add_co_u32 v47, s0, s12, v0
	v_add_co_ci_u32_e64 v48, s0, s13, v1, s0
	v_mov_b32_e32 v3, v8
	v_mad_u64_u32 v[8:9], null, s2, v20, 0
	v_mov_b32_e32 v5, v26
	v_mad_u64_u32 v[38:39], null, s2, v21, 0
	v_lshlrev_b64 v[2:3], 2, v[2:3]
	v_lshlrev_b64 v[4:5], 2, v[4:5]
	v_mad_u64_u32 v[25:26], null, s3, v13, v[7:8]
	v_mad_u64_u32 v[26:27], null, s3, v23, v[11:12]
	;; [unrolled: 1-line block ×4, first 2 shown]
	v_mov_b32_e32 v7, v25
	v_add_co_u32 v2, s0, v47, v2
	v_mov_b32_e32 v25, v26
	v_mad_u64_u32 v[26:27], null, s2, v19, 0
	v_mov_b32_e32 v9, v28
	v_lshlrev_b64 v[6:7], 2, v[6:7]
	v_add_co_ci_u32_e64 v3, s0, v48, v3, s0
	v_add_co_u32 v4, s0, v47, v4
	v_mov_b32_e32 v11, v27
	v_lshlrev_b64 v[24:25], 2, v[24:25]
	v_add_co_ci_u32_e64 v5, s0, v48, v5, s0
	v_add_co_u32 v6, s0, v47, v6
	v_mad_u64_u32 v[27:28], null, s3, v19, v[11:12]
	v_mov_b32_e32 v11, v30
	v_lshlrev_b64 v[8:9], 2, v[8:9]
	v_add_co_ci_u32_e64 v7, s0, v48, v7, s0
	v_add_co_u32 v24, s0, v47, v24
	v_mad_u64_u32 v[33:34], null, s3, v18, v[11:12]
	;; [unrolled: 5-line block ×3, first 2 shown]
	v_mad_u64_u32 v[36:37], null, s2, v22, 0
	v_mov_b32_e32 v30, v33
	v_mad_u64_u32 v[33:34], null, s2, v15, 0
	v_add_co_ci_u32_e64 v9, s0, v48, v9, s0
	v_lshlrev_b64 v[28:29], 2, v[29:30]
	v_mov_b32_e32 v30, v37
	v_add_co_u32 v26, s0, v47, v26
	v_mov_b32_e32 v11, v34
	v_mov_b32_e32 v32, v35
	v_mad_u64_u32 v[40:41], null, s3, v22, v[30:31]
	v_mad_u64_u32 v[41:42], null, s2, v12, 0
	;; [unrolled: 1-line block ×3, first 2 shown]
	v_mov_b32_e32 v11, v39
	v_add_co_ci_u32_e64 v27, s0, v48, v27, s0
	v_add_co_u32 v43, s0, v47, v28
	v_add_co_ci_u32_e64 v44, s0, v48, v29, s0
	v_lshlrev_b64 v[28:29], 2, v[31:32]
	v_mad_u64_u32 v[30:31], null, s3, v21, v[11:12]
	v_mov_b32_e32 v11, v42
	v_mov_b32_e32 v37, v40
	v_add_co_u32 v45, s0, v47, v28
	v_mad_u64_u32 v[31:32], null, s3, v12, v[11:12]
	v_add_co_ci_u32_e64 v46, s0, v48, v29, s0
	v_lshlrev_b64 v[28:29], 2, v[33:34]
	v_lshlrev_b64 v[32:33], 2, v[36:37]
	v_mov_b32_e32 v39, v30
	v_mov_b32_e32 v42, v31
	v_add_co_u32 v34, s0, v47, v28
	v_add_co_ci_u32_e64 v35, s0, v48, v29, s0
	v_lshlrev_b64 v[28:29], 2, v[38:39]
	v_add_co_u32 v30, s0, v47, v32
	v_add_co_ci_u32_e64 v31, s0, v48, v33, s0
	v_lshlrev_b64 v[32:33], 2, v[41:42]
	v_add_co_u32 v38, s0, v47, v28
	v_add_co_ci_u32_e64 v39, s0, v48, v29, s0
	v_add_co_u32 v47, s0, v47, v32
	v_add_co_ci_u32_e64 v48, s0, v48, v33, s0
	s_clause 0xb
	global_load_dword v28, v[2:3], off
	global_load_dword v32, v[4:5], off
	;; [unrolled: 1-line block ×12, first 2 shown]
	v_mov_b32_e32 v9, v15
	v_mov_b32_e32 v3, v17
	;; [unrolled: 1-line block ×5, first 2 shown]
	s_waitcnt vmcnt(11)
	v_lshrrev_b32_e32 v31, 16, v28
	s_waitcnt vmcnt(10)
	v_lshrrev_b32_e32 v35, 16, v32
	;; [unrolled: 2-line block ×12, first 2 shown]
.LBB0_13:
	s_or_b32 exec_lo, exec_lo, s1
	v_add_f16_e32 v44, v40, v41
	v_add_f16_e32 v45, v28, v40
	v_sub_f16_e32 v46, v43, v42
	v_add_f16_e32 v47, v43, v42
	v_sub_f16_e32 v40, v40, v41
	v_fmac_f16_e32 v28, -0.5, v44
	v_add_f16_e32 v41, v45, v41
	v_add_f16_e32 v45, v36, v37
	;; [unrolled: 1-line block ×3, first 2 shown]
	v_fmac_f16_e32 v31, -0.5, v47
	v_fmamk_f16 v44, v46, 0x3aee, v28
	v_fmac_f16_e32 v28, 0xbaee, v46
	v_add_f16_e32 v46, v39, v38
	v_add_f16_e32 v47, v32, v36
	v_fmac_f16_e32 v32, -0.5, v45
	v_sub_f16_e32 v45, v39, v38
	v_add_f16_e32 v39, v35, v39
	v_fmac_f16_e32 v35, -0.5, v46
	v_sub_f16_e32 v36, v36, v37
	v_add_f16_e32 v42, v43, v42
	v_fmamk_f16 v43, v40, 0xbaee, v31
	v_fmac_f16_e32 v31, 0x3aee, v40
	v_fmamk_f16 v40, v45, 0x3aee, v32
	v_fmac_f16_e32 v32, 0xbaee, v45
	;; [unrolled: 2-line block ×3, first 2 shown]
	v_add_f16_e32 v37, v47, v37
	v_mul_f16_e32 v36, 0.5, v40
	v_mul_f16_e32 v46, -0.5, v32
	v_add_f16_e32 v38, v39, v38
	v_mul_f16_e32 v39, 0xbaee, v40
	v_mul_f16_e32 v40, -0.5, v35
	v_mul_u32_u24_e32 v10, 0xc0, v10
	v_fmac_f16_e32 v46, 0x3aee, v35
	v_add_f16_e32 v35, v41, v37
	v_sub_f16_e32 v37, v41, v37
	v_fmac_f16_e32 v40, 0xbaee, v32
	v_add_f16_e32 v41, v27, v29
	v_add_f16_e32 v47, v42, v38
	v_sub_f16_e32 v38, v42, v38
	v_add_f16_e32 v42, v8, v27
	v_add_f16_e32 v49, v31, v40
	v_fmac_f16_e32 v8, -0.5, v41
	v_sub_f16_e32 v41, v33, v34
	v_sub_f16_e32 v40, v31, v40
	v_add_f16_e32 v31, v11, v33
	v_add_f16_e32 v33, v33, v34
	v_fmac_f16_e32 v39, 0.5, v45
	v_add_f16_e32 v42, v42, v29
	v_sub_f16_e32 v27, v27, v29
	v_add_f16_e32 v31, v31, v34
	v_add_f16_e32 v34, v24, v25
	v_fmac_f16_e32 v11, -0.5, v33
	v_add_f16_e32 v33, v30, v26
	v_add_f16_e32 v29, v4, v24
	v_sub_f16_e32 v24, v24, v25
	v_fmac_f16_e32 v4, -0.5, v34
	v_sub_f16_e32 v34, v30, v26
	v_add_f16_e32 v30, v6, v30
	v_fmac_f16_e32 v6, -0.5, v33
	v_add_f16_e32 v48, v43, v39
	v_sub_f16_e32 v39, v43, v39
	v_fmamk_f16 v43, v41, 0x3aee, v8
	v_fmac_f16_e32 v8, 0xbaee, v41
	v_fmamk_f16 v41, v27, 0xbaee, v11
	v_fmamk_f16 v33, v34, 0x3aee, v4
	v_fmac_f16_e32 v11, 0x3aee, v27
	v_fmac_f16_e32 v4, 0xbaee, v34
	v_fmamk_f16 v27, v24, 0xbaee, v6
	v_fmac_f16_e32 v6, 0x3aee, v24
	v_add_f16_e32 v25, v29, v25
	v_mul_f16_e32 v29, 0.5, v33
	v_mul_f16_e32 v24, -0.5, v4
	v_add_f16_e32 v26, v30, v26
	v_mul_f16_e32 v30, 0xbaee, v33
	v_mul_f16_e32 v33, -0.5, v6
	v_fmac_f16_e32 v36, 0x3aee, v45
	v_fmac_f16_e32 v29, 0x3aee, v27
	;; [unrolled: 1-line block ×3, first 2 shown]
	v_add_f16_e32 v45, v28, v46
	v_fmac_f16_e32 v33, 0xbaee, v4
	v_lshlrev_b32_e32 v4, 1, v10
	v_add_f16_e32 v32, v44, v36
	v_sub_f16_e32 v36, v44, v36
	v_add_f16_e32 v34, v42, v25
	v_fmac_f16_e32 v30, 0.5, v27
	v_add_f16_e32 v27, v43, v29
	v_add_f16_e32 v44, v8, v24
	v_sub_f16_e32 v25, v42, v25
	v_add_nc_u32_e32 v6, 0, v4
	v_sub_f16_e32 v8, v8, v24
	v_mul_i32_i24_e32 v24, 6, v2
	v_sub_f16_e32 v28, v28, v46
	v_add_f16_e32 v46, v31, v26
	v_sub_f16_e32 v29, v43, v29
	v_sub_f16_e32 v43, v31, v26
	v_pack_b32_f16 v26, v45, v37
	v_lshl_add_u32 v37, v24, 1, v6
	v_pack_b32_f16 v24, v44, v25
	v_pack_b32_f16 v25, v34, v27
	v_mul_lo_u16 v34, v16, 43
	v_mul_u32_u24_e32 v42, 6, v16
	v_pack_b32_f16 v39, v39, v40
	v_and_b32_e32 v40, 0xff, v2
	v_add_f16_e32 v50, v41, v30
	v_lshrrev_b16 v55, 8, v34
	v_add_f16_e32 v10, v11, v33
	v_sub_f16_e32 v41, v41, v30
	v_lshl_add_u32 v42, v42, 1, v6
	v_pack_b32_f16 v30, v35, v32
	v_mul_lo_u16 v44, v55, 6
	v_sub_f16_e32 v11, v11, v33
	v_pack_b32_f16 v27, v29, v8
	v_lshlrev_b32_e32 v8, 1, v16
	v_pack_b32_f16 v45, v47, v48
	v_sub_nc_u16 v47, v16, v44
	v_mul_lo_u16 v40, 0xab, v40
	v_pack_b32_f16 v28, v36, v28
	ds_write2_b32 v42, v30, v26 offset1:1
	ds_write_b32 v42, v28 offset:8
	ds_write2_b32 v37, v25, v24 offset1:1
	v_add_nc_u32_e32 v28, v6, v8
	v_mad_i32_i24 v25, v16, -10, v42
	v_mad_i32_i24 v26, v2, -10, v37
	v_pack_b32_f16 v38, v49, v38
	v_pack_b32_f16 v10, v10, v43
	;; [unrolled: 1-line block ×3, first 2 shown]
	v_mul_lo_u16 v44, v47, 3
	v_mov_b32_e32 v46, 2
	v_pack_b32_f16 v11, v41, v11
	v_lshrrev_b16 v48, 10, v40
	ds_write_b32 v37, v27 offset:8
	v_lshl_add_u32 v24, v5, 1, v6
	v_lshl_add_u32 v27, v7, 1, v6
	;; [unrolled: 1-line block ×4, first 2 shown]
	s_waitcnt lgkmcnt(0)
	s_barrier
	buffer_gl0_inv
	ds_read_u16 v31, v28
	ds_read_u16 v51, v24
	ds_read_u16 v52, v25 offset:192
	ds_read_u16 v53, v25 offset:224
	ds_read_u16 v33, v26
	ds_read_u16 v54, v27
	;; [unrolled: 1-line block ×4, first 2 shown]
	ds_read_u16 v34, v25 offset:352
	ds_read_u16 v56, v25 offset:320
	;; [unrolled: 1-line block ×4, first 2 shown]
	s_waitcnt lgkmcnt(0)
	s_barrier
	buffer_gl0_inv
	ds_write2_b32 v42, v45, v38 offset1:1
	ds_write_b32 v42, v39 offset:8
	ds_write2_b32 v37, v43, v10 offset1:1
	v_lshlrev_b32_sdwa v10, v46, v44 dst_sel:DWORD dst_unused:UNUSED_PAD src0_sel:DWORD src1_sel:BYTE_0
	ds_write_b32 v37, v11 offset:8
	v_mul_lo_u16 v11, v48, 6
	s_waitcnt lgkmcnt(0)
	s_barrier
	buffer_gl0_inv
	global_load_dwordx3 v[37:39], v10, s[8:9]
	v_sub_nc_u16 v10, v2, v11
	v_and_b32_e32 v40, 0xff, v3
	v_mul_lo_u16 v55, v55, 24
	v_mul_lo_u16 v48, v48, 24
	v_cmp_gt_u32_e64 s0, 24, v2
	v_mul_lo_u16 v11, v10, 3
	v_mul_lo_u16 v43, 0xab, v40
	v_or_b32_e32 v47, v55, v47
	v_or_b32_e32 v48, v48, v10
	v_mul_u32_u24_e32 v66, 3, v16
	v_lshlrev_b32_sdwa v11, v46, v11 dst_sel:DWORD dst_unused:UNUSED_PAD src0_sel:DWORD src1_sel:BYTE_0
	v_add3_u32 v4, 0, v8, v4
	v_and_b32_e32 v47, 0xff, v47
	global_load_dwordx3 v[40:42], v11, s[8:9]
	v_lshrrev_b16 v11, 10, v43
	v_mul_lo_u16 v43, v11, 6
	v_mul_lo_u16 v11, v11, 24
	v_sub_nc_u16 v49, v3, v43
	v_mul_lo_u16 v43, v49, 3
	v_or_b32_e32 v49, v11, v49
	v_mov_b32_e32 v11, 0
	v_lshlrev_b32_sdwa v43, v46, v43 dst_sel:DWORD dst_unused:UNUSED_PAD src0_sel:DWORD src1_sel:BYTE_0
	global_load_dwordx3 v[43:45], v43, s[8:9]
	ds_read_u16 v46, v24
	ds_read_u16 v50, v25 offset:192
	ds_read_u16 v58, v25 offset:288
	ds_read_u16 v59, v27
	ds_read_u16 v60, v25 offset:224
	ds_read_u16 v61, v25 offset:320
	;; [unrolled: 1-line block ×4, first 2 shown]
	ds_read_u16 v64, v28
	s_waitcnt vmcnt(2) lgkmcnt(8)
	v_mul_f16_sdwa v65, v46, v37 dst_sel:DWORD dst_unused:UNUSED_PAD src0_sel:DWORD src1_sel:WORD_1
	v_mul_f16_sdwa v67, v51, v37 dst_sel:DWORD dst_unused:UNUSED_PAD src0_sel:DWORD src1_sel:WORD_1
	s_waitcnt lgkmcnt(7)
	v_mul_f16_sdwa v55, v50, v38 dst_sel:DWORD dst_unused:UNUSED_PAD src0_sel:DWORD src1_sel:WORD_1
	v_fma_f16 v51, v51, v37, -v65
	v_mul_f16_sdwa v65, v52, v38 dst_sel:DWORD dst_unused:UNUSED_PAD src0_sel:DWORD src1_sel:WORD_1
	v_fmac_f16_e32 v67, v46, v37
	s_waitcnt lgkmcnt(6)
	v_mul_f16_sdwa v37, v58, v39 dst_sel:DWORD dst_unused:UNUSED_PAD src0_sel:DWORD src1_sel:WORD_1
	v_fma_f16 v46, v52, v38, -v55
	v_mul_f16_sdwa v52, v57, v39 dst_sel:DWORD dst_unused:UNUSED_PAD src0_sel:DWORD src1_sel:WORD_1
	v_fmac_f16_e32 v65, v50, v38
	v_add_nc_u32_e32 v38, -8, v16
	v_fma_f16 v50, v57, v39, -v37
	v_fmac_f16_e32 v52, v58, v39
	ds_read_u16 v39, v30
	ds_read_u16 v55, v29
	;; [unrolled: 1-line block ×3, first 2 shown]
	s_waitcnt vmcnt(1)
	v_mul_f16_sdwa v58, v54, v40 dst_sel:DWORD dst_unused:UNUSED_PAD src0_sel:DWORD src1_sel:WORD_1
	s_waitcnt lgkmcnt(8)
	v_mul_f16_sdwa v37, v59, v40 dst_sel:DWORD dst_unused:UNUSED_PAD src0_sel:DWORD src1_sel:WORD_1
	s_waitcnt lgkmcnt(7)
	v_mul_f16_sdwa v10, v60, v41 dst_sel:DWORD dst_unused:UNUSED_PAD src0_sel:DWORD src1_sel:WORD_1
	s_waitcnt vmcnt(0) lgkmcnt(0)
	s_barrier
	v_fmac_f16_e32 v58, v59, v40
	v_cndmask_b32_e64 v59, v38, v2, s0
	v_fma_f16 v54, v54, v40, -v37
	v_mul_f16_sdwa v40, v53, v41 dst_sel:DWORD dst_unused:UNUSED_PAD src0_sel:DWORD src1_sel:WORD_1
	v_fma_f16 v53, v53, v41, -v10
	v_mul_f16_sdwa v37, v61, v42 dst_sel:DWORD dst_unused:UNUSED_PAD src0_sel:DWORD src1_sel:WORD_1
	v_mul_i32_i24_e32 v10, 3, v59
	buffer_gl0_inv
	v_fmac_f16_e32 v40, v60, v41
	v_mul_f16_sdwa v41, v56, v42 dst_sel:DWORD dst_unused:UNUSED_PAD src0_sel:DWORD src1_sel:WORD_1
	v_fma_f16 v56, v56, v42, -v37
	v_lshlrev_b64 v[37:38], 2, v[10:11]
	v_lshl_add_u32 v10, v47, 1, v6
	v_and_b32_e32 v47, 0xff, v49
	v_fmac_f16_e32 v41, v61, v42
	v_and_b32_e32 v42, 0xff, v48
	v_sub_f16_e32 v40, v57, v40
	v_lshlrev_b32_e32 v60, 2, v66
	v_lshl_add_u32 v47, v47, 1, v6
	v_sub_f16_e32 v41, v58, v41
	v_mul_f16_sdwa v49, v35, v43 dst_sel:DWORD dst_unused:UNUSED_PAD src0_sel:DWORD src1_sel:WORD_1
	v_mul_f16_sdwa v48, v39, v43 dst_sel:DWORD dst_unused:UNUSED_PAD src0_sel:DWORD src1_sel:WORD_1
	;; [unrolled: 1-line block ×3, first 2 shown]
	v_fma_f16 v57, v57, 2.0, -v40
	v_fma_f16 v58, v58, 2.0, -v41
	v_fmac_f16_e32 v49, v39, v43
	v_mul_f16_sdwa v39, v62, v45 dst_sel:DWORD dst_unused:UNUSED_PAD src0_sel:DWORD src1_sel:WORD_1
	v_fma_f16 v35, v35, v43, -v48
	v_mul_f16_sdwa v48, v36, v44 dst_sel:DWORD dst_unused:UNUSED_PAD src0_sel:DWORD src1_sel:WORD_1
	v_mul_f16_sdwa v43, v34, v45 dst_sel:DWORD dst_unused:UNUSED_PAD src0_sel:DWORD src1_sel:WORD_1
	v_fma_f16 v36, v36, v44, -v61
	v_fma_f16 v34, v34, v45, -v39
	v_sub_f16_e32 v39, v31, v46
	v_fmac_f16_e32 v48, v63, v44
	v_fmac_f16_e32 v43, v62, v45
	v_sub_f16_e32 v44, v64, v65
	v_sub_f16_e32 v46, v67, v52
	;; [unrolled: 1-line block ×9, first 2 shown]
	v_fma_f16 v53, v64, 2.0, -v44
	v_fma_f16 v56, v67, 2.0, -v46
	;; [unrolled: 1-line block ×8, first 2 shown]
	v_sub_f16_e32 v46, v39, v46
	v_fma_f16 v55, v55, 2.0, -v48
	v_fma_f16 v49, v49, 2.0, -v43
	v_sub_f16_e32 v56, v53, v56
	v_add_f16_e32 v45, v44, v45
	v_sub_f16_e32 v51, v31, v51
	v_sub_f16_e32 v54, v33, v54
	;; [unrolled: 1-line block ×5, first 2 shown]
	v_add_f16_e32 v52, v40, v52
	v_sub_f16_e32 v43, v36, v43
	v_add_f16_e32 v34, v48, v34
	v_fma_f16 v39, v39, 2.0, -v46
	v_sub_f16_e32 v49, v55, v49
	ds_write_b16 v10, v46 offset:36
	v_fma_f16 v46, v53, 2.0, -v56
	v_fma_f16 v44, v44, 2.0, -v45
	;; [unrolled: 1-line block ×3, first 2 shown]
	v_lshl_add_u32 v42, v42, 1, v6
	v_fma_f16 v33, v33, 2.0, -v54
	v_fma_f16 v50, v50, 2.0, -v41
	;; [unrolled: 1-line block ×8, first 2 shown]
	ds_write_b16 v10, v39 offset:12
	ds_write_b16 v10, v51 offset:24
	ds_write_b16 v10, v31
	ds_write_b16 v42, v33
	ds_write_b16 v42, v50 offset:12
	ds_write_b16 v42, v54 offset:24
	;; [unrolled: 1-line block ×3, first 2 shown]
	ds_write_b16 v47, v32
	ds_write_b16 v47, v36 offset:12
	ds_write_b16 v47, v35 offset:24
	;; [unrolled: 1-line block ×3, first 2 shown]
	s_waitcnt lgkmcnt(0)
	s_barrier
	buffer_gl0_inv
	ds_read_u16 v41, v28
	ds_read_u16 v43, v24
	ds_read_u16 v50, v25 offset:192
	ds_read_u16 v51, v25 offset:224
	ds_read_u16 v54, v26
	ds_read_u16 v57, v27
	;; [unrolled: 1-line block ×4, first 2 shown]
	ds_read_u16 v63, v25 offset:352
	ds_read_u16 v64, v25 offset:320
	;; [unrolled: 1-line block ×4, first 2 shown]
	s_waitcnt lgkmcnt(0)
	s_barrier
	buffer_gl0_inv
	ds_write_b16 v10, v46
	ds_write_b16 v10, v44 offset:12
	ds_write_b16 v10, v56 offset:24
	ds_write_b16 v10, v45 offset:36
	ds_write_b16 v42, v53
	ds_write_b16 v42, v40 offset:12
	ds_write_b16 v42, v58 offset:24
	ds_write_b16 v42, v52 offset:36
	;; [unrolled: 4-line block ×3, first 2 shown]
	s_waitcnt lgkmcnt(0)
	s_barrier
	buffer_gl0_inv
	global_load_dwordx3 v[31:33], v60, s[8:9] offset:72
	v_add_co_u32 v34, s0, s8, v37
	v_add_co_ci_u32_e64 v35, s0, s9, v38, s0
	s_clause 0x1
	global_load_dwordx3 v[34:36], v[34:35], off offset:72
	global_load_dwordx3 v[37:39], v60, s[8:9] offset:168
	v_cmp_lt_u32_e64 s0, 23, v2
	ds_read_u16 v40, v24
	ds_read_u16 v42, v25 offset:192
	ds_read_u16 v44, v25 offset:288
	v_cndmask_b32_e64 v10, 0, 0x60, s0
	v_or_b32_e32 v10, v10, v59
	v_lshl_add_u32 v6, v10, 1, v6
	ds_read_u16 v8, v27
	ds_read_u16 v10, v25 offset:224
	ds_read_u16 v45, v25 offset:320
	;; [unrolled: 1-line block ×4, first 2 shown]
	ds_read_u16 v48, v28
	ds_read_u16 v49, v30
	;; [unrolled: 1-line block ×4, first 2 shown]
	s_waitcnt vmcnt(0) lgkmcnt(0)
	s_barrier
	buffer_gl0_inv
	v_mul_f16_sdwa v55, v40, v31 dst_sel:DWORD dst_unused:UNUSED_PAD src0_sel:DWORD src1_sel:WORD_1
	v_mul_f16_sdwa v56, v43, v31 dst_sel:DWORD dst_unused:UNUSED_PAD src0_sel:DWORD src1_sel:WORD_1
	;; [unrolled: 1-line block ×5, first 2 shown]
	v_fma_f16 v43, v43, v31, -v55
	v_mul_f16_sdwa v55, v65, v33 dst_sel:DWORD dst_unused:UNUSED_PAD src0_sel:DWORD src1_sel:WORD_1
	v_fmac_f16_e32 v56, v40, v31
	v_mul_f16_sdwa v31, v8, v34 dst_sel:DWORD dst_unused:UNUSED_PAD src0_sel:DWORD src1_sel:WORD_1
	v_fma_f16 v40, v50, v32, -v58
	v_mul_f16_sdwa v50, v57, v34 dst_sel:DWORD dst_unused:UNUSED_PAD src0_sel:DWORD src1_sel:WORD_1
	v_mul_f16_sdwa v58, v51, v35 dst_sel:DWORD dst_unused:UNUSED_PAD src0_sel:DWORD src1_sel:WORD_1
	v_fmac_f16_e32 v59, v42, v32
	v_mul_f16_sdwa v32, v10, v35 dst_sel:DWORD dst_unused:UNUSED_PAD src0_sel:DWORD src1_sel:WORD_1
	v_fma_f16 v42, v65, v33, -v60
	v_fmac_f16_e32 v55, v44, v33
	v_mul_f16_sdwa v33, v45, v36 dst_sel:DWORD dst_unused:UNUSED_PAD src0_sel:DWORD src1_sel:WORD_1
	v_mul_f16_sdwa v44, v64, v36 dst_sel:DWORD dst_unused:UNUSED_PAD src0_sel:DWORD src1_sel:WORD_1
	v_mul_f16_sdwa v60, v49, v37 dst_sel:DWORD dst_unused:UNUSED_PAD src0_sel:DWORD src1_sel:WORD_1
	v_fma_f16 v31, v57, v34, -v31
	v_mul_f16_sdwa v57, v47, v38 dst_sel:DWORD dst_unused:UNUSED_PAD src0_sel:DWORD src1_sel:WORD_1
	v_fmac_f16_e32 v50, v8, v34
	v_mul_f16_sdwa v34, v46, v39 dst_sel:DWORD dst_unused:UNUSED_PAD src0_sel:DWORD src1_sel:WORD_1
	v_mul_f16_sdwa v65, v62, v37 dst_sel:DWORD dst_unused:UNUSED_PAD src0_sel:DWORD src1_sel:WORD_1
	;; [unrolled: 1-line block ×3, first 2 shown]
	v_fmac_f16_e32 v58, v10, v35
	v_mul_f16_sdwa v10, v63, v39 dst_sel:DWORD dst_unused:UNUSED_PAD src0_sel:DWORD src1_sel:WORD_1
	v_fma_f16 v32, v51, v35, -v32
	v_fma_f16 v33, v64, v36, -v33
	v_fmac_f16_e32 v44, v45, v36
	v_fma_f16 v35, v62, v37, -v60
	v_fma_f16 v36, v66, v38, -v57
	;; [unrolled: 1-line block ×3, first 2 shown]
	v_fmac_f16_e32 v65, v49, v37
	v_fmac_f16_e32 v8, v47, v38
	v_fmac_f16_e32 v10, v46, v39
	v_sub_f16_e32 v37, v41, v40
	v_sub_f16_e32 v39, v43, v42
	;; [unrolled: 1-line block ×11, first 2 shown]
	v_fma_f16 v41, v41, 2.0, -v37
	v_fma_f16 v43, v43, 2.0, -v39
	v_add_f16_e32 v47, v38, v39
	v_fma_f16 v39, v54, 2.0, -v32
	v_fma_f16 v31, v31, 2.0, -v33
	v_sub_f16_e32 v10, v65, v10
	v_fma_f16 v49, v50, 2.0, -v44
	v_add_f16_e32 v50, v42, v33
	v_fma_f16 v33, v61, 2.0, -v36
	v_fma_f16 v35, v35, 2.0, -v34
	;; [unrolled: 1-line block ×3, first 2 shown]
	v_sub_f16_e32 v40, v37, v40
	v_fma_f16 v45, v48, 2.0, -v38
	v_fma_f16 v48, v53, 2.0, -v42
	v_add_f16_e32 v53, v8, v34
	v_sub_f16_e32 v34, v41, v43
	v_sub_f16_e32 v31, v39, v31
	;; [unrolled: 1-line block ×3, first 2 shown]
	v_fma_f16 v51, v52, 2.0, -v8
	v_fma_f16 v52, v65, 2.0, -v10
	v_sub_f16_e32 v10, v36, v10
	v_sub_f16_e32 v35, v33, v35
	v_fma_f16 v37, v37, 2.0, -v40
	v_sub_f16_e32 v43, v45, v46
	v_fma_f16 v46, v38, 2.0, -v47
	v_fma_f16 v38, v41, 2.0, -v34
	;; [unrolled: 1-line block ×7, first 2 shown]
	ds_write_b16 v25, v40 offset:144
	ds_write_b16 v25, v37 offset:48
	;; [unrolled: 1-line block ×3, first 2 shown]
	ds_write_b16 v25, v38
	ds_write_b16 v6, v39
	ds_write_b16 v6, v32 offset:48
	ds_write_b16 v6, v31 offset:96
	;; [unrolled: 1-line block ×7, first 2 shown]
	s_waitcnt lgkmcnt(0)
	s_barrier
	buffer_gl0_inv
	ds_read_u16 v32, v28
	ds_read_u16 v31, v26
	ds_read_u16 v37, v25 offset:256
	ds_read_u16 v38, v25 offset:288
	;; [unrolled: 1-line block ×6, first 2 shown]
	ds_read_u16 v34, v24
	ds_read_u16 v36, v30
	;; [unrolled: 1-line block ×4, first 2 shown]
	v_sub_f16_e32 v49, v48, v49
	v_sub_f16_e32 v52, v51, v52
	v_fma_f16 v45, v45, 2.0, -v43
	v_fma_f16 v8, v8, 2.0, -v53
	s_waitcnt lgkmcnt(0)
	v_fma_f16 v48, v48, 2.0, -v49
	v_fma_f16 v51, v51, 2.0, -v52
	s_barrier
	buffer_gl0_inv
	ds_write_b16 v25, v45
	ds_write_b16 v25, v46 offset:48
	ds_write_b16 v25, v43 offset:96
	;; [unrolled: 1-line block ×3, first 2 shown]
	ds_write_b16 v6, v48
	ds_write_b16 v6, v54 offset:48
	ds_write_b16 v6, v49 offset:96
	;; [unrolled: 1-line block ×7, first 2 shown]
	s_waitcnt lgkmcnt(0)
	s_barrier
	buffer_gl0_inv
	s_and_saveexec_b32 s0, vcc_lo
	s_cbranch_execz .LBB0_15
; %bb.14:
	v_mov_b32_e32 v10, v11
	v_mov_b32_e32 v8, v11
	;; [unrolled: 1-line block ×4, first 2 shown]
	v_mad_u64_u32 v[45:46], null, s2, v14, 0
	v_lshlrev_b64 v[9:10], 2, v[9:10]
	v_lshlrev_b64 v[7:8], 2, v[7:8]
	;; [unrolled: 1-line block ×4, first 2 shown]
	v_mov_b32_e32 v3, v11
	v_mad_u64_u32 v[47:48], null, s2, v21, 0
	v_add_co_u32 v9, vcc_lo, s8, v9
	v_add_co_ci_u32_e32 v10, vcc_lo, s9, v10, vcc_lo
	v_add_co_u32 v7, vcc_lo, s8, v7
	v_add_co_ci_u32_e32 v8, vcc_lo, s9, v8, vcc_lo
	v_add_co_u32 v4, vcc_lo, s8, v5
	v_lshlrev_b64 v[2:3], 2, v[2:3]
	v_add_co_ci_u32_e32 v5, vcc_lo, s9, v6, vcc_lo
	v_add_co_u32 v43, vcc_lo, s8, v43
	v_add_co_ci_u32_e32 v44, vcc_lo, s9, v44, vcc_lo
	v_lshlrev_b32_e32 v6, 2, v16
	v_add_co_u32 v2, vcc_lo, s8, v2
	v_add_co_ci_u32_e32 v3, vcc_lo, s9, v3, vcc_lo
	s_clause 0x5
	global_load_dword v62, v6, s[8:9] offset:360
	global_load_dword v63, v[9:10], off offset:360
	global_load_dword v64, v[7:8], off offset:360
	;; [unrolled: 1-line block ×5, first 2 shown]
	v_mad_u64_u32 v[2:3], null, s2, v23, 0
	v_mad_u64_u32 v[4:5], null, s2, v18, 0
	;; [unrolled: 1-line block ×6, first 2 shown]
	v_add_co_u32 v68, vcc_lo, s12, v0
	v_add_co_ci_u32_e32 v69, vcc_lo, s13, v1, vcc_lo
	v_mov_b32_e32 v0, v3
	v_mov_b32_e32 v1, v5
	v_mad_u64_u32 v[51:52], null, s2, v19, 0
	v_mad_u64_u32 v[53:54], null, s2, v15, 0
	v_mov_b32_e32 v3, v7
	v_mov_b32_e32 v7, v11
	v_mad_u64_u32 v[57:58], null, s3, v23, v[0:1]
	v_mov_b32_e32 v5, v9
	v_mov_b32_e32 v9, v44
	;; [unrolled: 1-line block ×3, first 2 shown]
	v_mad_u64_u32 v[58:59], null, s3, v18, v[1:2]
	v_mov_b32_e32 v1, v48
	v_mad_u64_u32 v[49:50], null, s2, v13, 0
	v_mad_u64_u32 v[59:60], null, s3, v16, v[3:4]
	;; [unrolled: 1-line block ×6, first 2 shown]
	v_mov_b32_e32 v0, v52
	v_mad_u64_u32 v[20:21], null, s3, v21, v[1:2]
	v_mov_b32_e32 v1, v54
	v_mov_b32_e32 v3, v50
	;; [unrolled: 1-line block ×3, first 2 shown]
	v_mad_u64_u32 v[22:23], null, s3, v22, v[5:6]
	v_mad_u64_u32 v[18:19], null, s3, v19, v[0:1]
	;; [unrolled: 1-line block ×3, first 2 shown]
	v_mov_b32_e32 v1, v56
	v_mad_u64_u32 v[13:14], null, s3, v13, v[3:4]
	ds_read_u16 v28, v28
	v_mov_b32_e32 v3, v57
	ds_read_u16 v57, v25 offset:352
	ds_read_u16 v59, v25 offset:320
	;; [unrolled: 1-line block ×5, first 2 shown]
	ds_read_u16 v30, v30
	ds_read_u16 v29, v29
	;; [unrolled: 1-line block ×4, first 2 shown]
	ds_read_u16 v25, v25 offset:192
	ds_read_u16 v24, v24
	v_mad_u64_u32 v[14:15], null, s3, v12, v[1:2]
	v_mov_b32_e32 v54, v0
	v_lshlrev_b64 v[0:1], 2, v[6:7]
	v_mov_b32_e32 v5, v58
	v_lshlrev_b64 v[2:3], 2, v[2:3]
	v_mov_b32_e32 v9, v22
	v_mov_b32_e32 v11, v16
	;; [unrolled: 1-line block ×3, first 2 shown]
	v_lshlrev_b64 v[4:5], 2, v[4:5]
	v_add_co_u32 v0, vcc_lo, v68, v0
	v_add_co_ci_u32_e32 v1, vcc_lo, v69, v1, vcc_lo
	v_lshlrev_b64 v[6:7], 2, v[8:9]
	v_add_co_u32 v2, vcc_lo, v68, v2
	v_add_co_ci_u32_e32 v3, vcc_lo, v69, v3, vcc_lo
	v_lshlrev_b64 v[8:9], 2, v[10:11]
	v_add_co_u32 v4, vcc_lo, v68, v4
	v_mov_b32_e32 v46, v60
	v_add_co_ci_u32_e32 v5, vcc_lo, v69, v5, vcc_lo
	v_mov_b32_e32 v52, v18
	v_lshlrev_b64 v[10:11], 2, v[43:44]
	v_add_co_u32 v6, vcc_lo, v68, v6
	v_mov_b32_e32 v48, v20
	v_mov_b32_e32 v50, v13
	v_add_co_ci_u32_e32 v7, vcc_lo, v69, v7, vcc_lo
	v_lshlrev_b64 v[12:13], 2, v[45:46]
	v_lshlrev_b64 v[20:21], 2, v[53:54]
	v_add_co_u32 v8, vcc_lo, v68, v8
	v_lshlrev_b64 v[18:19], 2, v[51:52]
	v_add_co_ci_u32_e32 v9, vcc_lo, v69, v9, vcc_lo
	v_mov_b32_e32 v56, v14
	v_lshlrev_b64 v[14:15], 2, v[47:48]
	v_lshlrev_b64 v[16:17], 2, v[49:50]
	v_add_co_u32 v10, vcc_lo, v68, v10
	v_add_co_ci_u32_e32 v11, vcc_lo, v69, v11, vcc_lo
	v_add_co_u32 v12, vcc_lo, v68, v12
	v_add_co_ci_u32_e32 v13, vcc_lo, v69, v13, vcc_lo
	;; [unrolled: 2-line block ×4, first 2 shown]
	v_lshlrev_b64 v[22:23], 2, v[55:56]
	v_add_co_u32 v18, vcc_lo, v68, v18
	v_add_co_ci_u32_e32 v19, vcc_lo, v69, v19, vcc_lo
	v_add_co_u32 v20, vcc_lo, v68, v20
	v_add_co_ci_u32_e32 v21, vcc_lo, v69, v21, vcc_lo
	v_add_co_u32 v22, vcc_lo, v68, v22
	v_add_co_ci_u32_e32 v23, vcc_lo, v69, v23, vcc_lo
	s_waitcnt vmcnt(5) lgkmcnt(1)
	v_mul_f16_sdwa v43, v25, v62 dst_sel:DWORD dst_unused:UNUSED_PAD src0_sel:DWORD src1_sel:WORD_1
	v_mul_f16_sdwa v44, v42, v62 dst_sel:DWORD dst_unused:UNUSED_PAD src0_sel:DWORD src1_sel:WORD_1
	s_waitcnt vmcnt(4)
	v_mul_f16_sdwa v46, v41, v63 dst_sel:DWORD dst_unused:UNUSED_PAD src0_sel:DWORD src1_sel:WORD_1
	s_waitcnt vmcnt(0)
	v_mul_f16_sdwa v53, v71, v67 dst_sel:DWORD dst_unused:UNUSED_PAD src0_sel:DWORD src1_sel:WORD_1
	v_mul_f16_sdwa v54, v39, v67 dst_sel:DWORD dst_unused:UNUSED_PAD src0_sel:DWORD src1_sel:WORD_1
	;; [unrolled: 1-line block ×9, first 2 shown]
	v_fma_f16 v42, v42, v62, -v43
	v_fmac_f16_e32 v44, v62, v25
	v_fma_f16 v39, v39, v67, -v53
	v_fmac_f16_e32 v54, v67, v71
	v_fmac_f16_e32 v46, v63, v57
	v_fma_f16 v37, v37, v66, -v51
	v_fmac_f16_e32 v52, v66, v70
	v_fma_f16 v25, v41, v63, -v45
	v_fma_f16 v40, v40, v64, -v47
	v_fmac_f16_e32 v48, v64, v59
	v_fma_f16 v38, v38, v65, -v49
	v_fmac_f16_e32 v50, v65, v61
	v_sub_f16_e32 v41, v32, v42
	v_sub_f16_e32 v42, v28, v44
	;; [unrolled: 1-line block ×11, first 2 shown]
	s_waitcnt lgkmcnt(0)
	v_sub_f16_e32 v45, v24, v50
	v_fma_f16 v32, v32, 2.0, -v41
	v_fma_f16 v28, v28, 2.0, -v42
	;; [unrolled: 1-line block ×12, first 2 shown]
	v_pack_b32_f16 v28, v32, v28
	v_pack_b32_f16 v41, v41, v42
	v_pack_b32_f16 v26, v31, v26
	v_pack_b32_f16 v39, v39, v47
	v_pack_b32_f16 v29, v33, v29
	v_pack_b32_f16 v37, v37, v46
	v_pack_b32_f16 v38, v38, v45
	v_pack_b32_f16 v40, v40, v44
	v_pack_b32_f16 v25, v25, v43
	v_pack_b32_f16 v24, v34, v24
	v_pack_b32_f16 v27, v35, v27
	v_pack_b32_f16 v30, v36, v30
	global_store_dword v[0:1], v28, off
	global_store_dword v[2:3], v41, off
	;; [unrolled: 1-line block ×12, first 2 shown]
.LBB0_15:
	s_endpgm
	.section	.rodata,"a",@progbits
	.p2align	6, 0x0
	.amdhsa_kernel fft_rtc_fwd_len192_factors_6_4_4_2_wgs_128_tpt_16_halfLds_half_ip_CI_sbrr_dirReg
		.amdhsa_group_segment_fixed_size 0
		.amdhsa_private_segment_fixed_size 0
		.amdhsa_kernarg_size 88
		.amdhsa_user_sgpr_count 6
		.amdhsa_user_sgpr_private_segment_buffer 1
		.amdhsa_user_sgpr_dispatch_ptr 0
		.amdhsa_user_sgpr_queue_ptr 0
		.amdhsa_user_sgpr_kernarg_segment_ptr 1
		.amdhsa_user_sgpr_dispatch_id 0
		.amdhsa_user_sgpr_flat_scratch_init 0
		.amdhsa_user_sgpr_private_segment_size 0
		.amdhsa_wavefront_size32 1
		.amdhsa_uses_dynamic_stack 0
		.amdhsa_system_sgpr_private_segment_wavefront_offset 0
		.amdhsa_system_sgpr_workgroup_id_x 1
		.amdhsa_system_sgpr_workgroup_id_y 0
		.amdhsa_system_sgpr_workgroup_id_z 0
		.amdhsa_system_sgpr_workgroup_info 0
		.amdhsa_system_vgpr_workitem_id 0
		.amdhsa_next_free_vgpr 72
		.amdhsa_next_free_sgpr 23
		.amdhsa_reserve_vcc 1
		.amdhsa_reserve_flat_scratch 0
		.amdhsa_float_round_mode_32 0
		.amdhsa_float_round_mode_16_64 0
		.amdhsa_float_denorm_mode_32 3
		.amdhsa_float_denorm_mode_16_64 3
		.amdhsa_dx10_clamp 1
		.amdhsa_ieee_mode 1
		.amdhsa_fp16_overflow 0
		.amdhsa_workgroup_processor_mode 1
		.amdhsa_memory_ordered 1
		.amdhsa_forward_progress 0
		.amdhsa_shared_vgpr_count 0
		.amdhsa_exception_fp_ieee_invalid_op 0
		.amdhsa_exception_fp_denorm_src 0
		.amdhsa_exception_fp_ieee_div_zero 0
		.amdhsa_exception_fp_ieee_overflow 0
		.amdhsa_exception_fp_ieee_underflow 0
		.amdhsa_exception_fp_ieee_inexact 0
		.amdhsa_exception_int_div_zero 0
	.end_amdhsa_kernel
	.text
.Lfunc_end0:
	.size	fft_rtc_fwd_len192_factors_6_4_4_2_wgs_128_tpt_16_halfLds_half_ip_CI_sbrr_dirReg, .Lfunc_end0-fft_rtc_fwd_len192_factors_6_4_4_2_wgs_128_tpt_16_halfLds_half_ip_CI_sbrr_dirReg
                                        ; -- End function
	.section	.AMDGPU.csdata,"",@progbits
; Kernel info:
; codeLenInByte = 6668
; NumSgprs: 25
; NumVgprs: 72
; ScratchSize: 0
; MemoryBound: 0
; FloatMode: 240
; IeeeMode: 1
; LDSByteSize: 0 bytes/workgroup (compile time only)
; SGPRBlocks: 3
; VGPRBlocks: 8
; NumSGPRsForWavesPerEU: 25
; NumVGPRsForWavesPerEU: 72
; Occupancy: 12
; WaveLimiterHint : 1
; COMPUTE_PGM_RSRC2:SCRATCH_EN: 0
; COMPUTE_PGM_RSRC2:USER_SGPR: 6
; COMPUTE_PGM_RSRC2:TRAP_HANDLER: 0
; COMPUTE_PGM_RSRC2:TGID_X_EN: 1
; COMPUTE_PGM_RSRC2:TGID_Y_EN: 0
; COMPUTE_PGM_RSRC2:TGID_Z_EN: 0
; COMPUTE_PGM_RSRC2:TIDIG_COMP_CNT: 0
	.text
	.p2alignl 6, 3214868480
	.fill 48, 4, 3214868480
	.type	__hip_cuid_f38330dcc40b952c,@object ; @__hip_cuid_f38330dcc40b952c
	.section	.bss,"aw",@nobits
	.globl	__hip_cuid_f38330dcc40b952c
__hip_cuid_f38330dcc40b952c:
	.byte	0                               ; 0x0
	.size	__hip_cuid_f38330dcc40b952c, 1

	.ident	"AMD clang version 19.0.0git (https://github.com/RadeonOpenCompute/llvm-project roc-6.4.0 25133 c7fe45cf4b819c5991fe208aaa96edf142730f1d)"
	.section	".note.GNU-stack","",@progbits
	.addrsig
	.addrsig_sym __hip_cuid_f38330dcc40b952c
	.amdgpu_metadata
---
amdhsa.kernels:
  - .args:
      - .actual_access:  read_only
        .address_space:  global
        .offset:         0
        .size:           8
        .value_kind:     global_buffer
      - .offset:         8
        .size:           8
        .value_kind:     by_value
      - .actual_access:  read_only
        .address_space:  global
        .offset:         16
        .size:           8
        .value_kind:     global_buffer
      - .actual_access:  read_only
        .address_space:  global
        .offset:         24
        .size:           8
        .value_kind:     global_buffer
      - .offset:         32
        .size:           8
        .value_kind:     by_value
      - .actual_access:  read_only
        .address_space:  global
        .offset:         40
        .size:           8
        .value_kind:     global_buffer
      - .actual_access:  read_only
        .address_space:  global
        .offset:         48
        .size:           8
        .value_kind:     global_buffer
      - .offset:         56
        .size:           4
        .value_kind:     by_value
      - .actual_access:  read_only
        .address_space:  global
        .offset:         64
        .size:           8
        .value_kind:     global_buffer
      - .actual_access:  read_only
        .address_space:  global
        .offset:         72
        .size:           8
        .value_kind:     global_buffer
      - .address_space:  global
        .offset:         80
        .size:           8
        .value_kind:     global_buffer
    .group_segment_fixed_size: 0
    .kernarg_segment_align: 8
    .kernarg_segment_size: 88
    .language:       OpenCL C
    .language_version:
      - 2
      - 0
    .max_flat_workgroup_size: 128
    .name:           fft_rtc_fwd_len192_factors_6_4_4_2_wgs_128_tpt_16_halfLds_half_ip_CI_sbrr_dirReg
    .private_segment_fixed_size: 0
    .sgpr_count:     25
    .sgpr_spill_count: 0
    .symbol:         fft_rtc_fwd_len192_factors_6_4_4_2_wgs_128_tpt_16_halfLds_half_ip_CI_sbrr_dirReg.kd
    .uniform_work_group_size: 1
    .uses_dynamic_stack: false
    .vgpr_count:     72
    .vgpr_spill_count: 0
    .wavefront_size: 32
    .workgroup_processor_mode: 1
amdhsa.target:   amdgcn-amd-amdhsa--gfx1030
amdhsa.version:
  - 1
  - 2
...

	.end_amdgpu_metadata
